;; amdgpu-corpus repo=ROCm/rocFFT kind=compiled arch=gfx1030 opt=O3
	.text
	.amdgcn_target "amdgcn-amd-amdhsa--gfx1030"
	.amdhsa_code_object_version 6
	.protected	fft_rtc_back_len336_factors_6_7_8_wgs_336_tpt_56_dp_ip_CI_sbcc_twdbase5_3step_dirReg ; -- Begin function fft_rtc_back_len336_factors_6_7_8_wgs_336_tpt_56_dp_ip_CI_sbcc_twdbase5_3step_dirReg
	.globl	fft_rtc_back_len336_factors_6_7_8_wgs_336_tpt_56_dp_ip_CI_sbcc_twdbase5_3step_dirReg
	.p2align	8
	.type	fft_rtc_back_len336_factors_6_7_8_wgs_336_tpt_56_dp_ip_CI_sbcc_twdbase5_3step_dirReg,@function
fft_rtc_back_len336_factors_6_7_8_wgs_336_tpt_56_dp_ip_CI_sbcc_twdbase5_3step_dirReg: ; @fft_rtc_back_len336_factors_6_7_8_wgs_336_tpt_56_dp_ip_CI_sbcc_twdbase5_3step_dirReg
; %bb.0:
	s_load_dwordx8 s[8:15], s[4:5], 0x8
	s_mov_b32 s0, exec_lo
	v_cmpx_gt_u32_e32 0x60, v0
	s_cbranch_execz .LBB0_2
; %bb.1:
	v_lshlrev_b32_e32 v5, 4, v0
	s_waitcnt lgkmcnt(0)
	global_load_dwordx4 v[1:4], v5, s[8:9]
	v_add3_u32 v5, 0, v5, 0x7e00
	s_waitcnt vmcnt(0)
	ds_write2_b64 v5, v[1:2], v[3:4] offset1:1
.LBB0_2:
	s_or_b32 exec_lo, exec_lo, s0
	s_waitcnt lgkmcnt(0)
	s_load_dwordx2 s[0:1], s[12:13], 0x8
	s_mov_b64 s[22:23], 0
	s_waitcnt lgkmcnt(0)
	s_add_u32 s2, s0, -1
	s_addc_u32 s3, s1, -1
	s_add_u32 s7, 0, 0xaaa80000
	s_addc_u32 s8, 0, 0xaa
	s_mul_hi_u32 s16, s7, -6
	s_add_i32 s8, s8, 0x2aaaaa00
	s_sub_i32 s16, s16, s7
	s_mul_i32 s18, s8, -6
	s_mul_i32 s9, s7, -6
	s_add_i32 s16, s16, s18
	s_mul_hi_u32 s17, s7, s9
	s_mul_i32 s20, s7, s16
	s_mul_hi_u32 s18, s7, s16
	s_mul_hi_u32 s19, s8, s9
	s_mul_i32 s9, s8, s9
	s_add_u32 s17, s17, s20
	s_addc_u32 s18, 0, s18
	s_mul_hi_u32 s21, s8, s16
	s_add_u32 s9, s17, s9
	s_mul_i32 s16, s8, s16
	s_addc_u32 s9, s18, s19
	s_addc_u32 s17, s21, 0
	s_add_u32 s9, s9, s16
	v_add_co_u32 v1, s7, s7, s9
	s_addc_u32 s9, 0, s17
	s_cmp_lg_u32 s7, 0
	s_addc_u32 s7, s8, s9
	v_readfirstlane_b32 s8, v1
	s_mul_i32 s16, s2, s7
	s_mul_hi_u32 s9, s2, s7
	s_mul_hi_u32 s17, s3, s7
	s_mul_i32 s7, s3, s7
	s_mul_hi_u32 s18, s2, s8
	s_mul_hi_u32 s19, s3, s8
	s_mul_i32 s8, s3, s8
	s_add_u32 s16, s18, s16
	s_addc_u32 s9, 0, s9
	s_add_u32 s8, s16, s8
	s_addc_u32 s8, s9, s19
	s_addc_u32 s9, s17, 0
	s_add_u32 s8, s8, s7
	s_addc_u32 s9, 0, s9
	s_mul_i32 s16, s8, 6
	s_add_u32 s7, s8, 1
	v_sub_co_u32 v1, s2, s2, s16
	s_mul_hi_u32 s16, s8, 6
	s_addc_u32 s17, s9, 0
	s_mul_i32 s18, s9, 6
	v_sub_co_u32 v2, s19, v1, 6
	s_add_u32 s20, s8, 2
	s_addc_u32 s21, s9, 0
	s_add_i32 s16, s16, s18
	s_cmp_lg_u32 s2, 0
	v_readfirstlane_b32 s2, v2
	s_subb_u32 s3, s3, s16
	s_cmp_lg_u32 s19, 0
	s_subb_u32 s16, s3, 0
	s_cmp_gt_u32 s2, 5
	s_cselect_b32 s2, -1, 0
	s_cmp_eq_u32 s16, 0
	v_readfirstlane_b32 s16, v1
	s_cselect_b32 s2, s2, -1
	s_cmp_lg_u32 s2, 0
	s_cselect_b32 s2, s20, s7
	s_cselect_b32 s17, s21, s17
	s_cmp_gt_u32 s16, 5
	s_cselect_b32 s7, -1, 0
	s_cmp_eq_u32 s3, 0
	s_cselect_b32 s3, s7, -1
	s_mov_b32 s7, 0
	s_cmp_lg_u32 s3, 0
	s_cselect_b32 s2, s2, s8
	s_cselect_b32 s3, s17, s9
	s_add_u32 s20, s2, 1
	s_addc_u32 s21, s3, 0
	v_cmp_lt_u64_e64 s2, s[6:7], s[20:21]
	s_and_b32 vcc_lo, exec_lo, s2
	s_cbranch_vccnz .LBB0_4
; %bb.3:
	v_cvt_f32_u32_e32 v1, s20
	s_sub_i32 s3, 0, s20
	s_mov_b32 s23, s7
	v_rcp_iflag_f32_e32 v1, v1
	v_mul_f32_e32 v1, 0x4f7ffffe, v1
	v_cvt_u32_f32_e32 v1, v1
	v_readfirstlane_b32 s2, v1
	s_mul_i32 s3, s3, s2
	s_mul_hi_u32 s3, s2, s3
	s_add_i32 s2, s2, s3
	s_mul_hi_u32 s2, s6, s2
	s_mul_i32 s3, s2, s20
	s_add_i32 s8, s2, 1
	s_sub_i32 s3, s6, s3
	s_sub_i32 s9, s3, s20
	s_cmp_ge_u32 s3, s20
	s_cselect_b32 s2, s8, s2
	s_cselect_b32 s3, s9, s3
	s_add_i32 s8, s2, 1
	s_cmp_ge_u32 s3, s20
	s_cselect_b32 s22, s8, s2
.LBB0_4:
	s_load_dwordx4 s[16:19], s[14:15], 0x0
	s_clause 0x1
	s_load_dwordx2 s[2:3], s[4:5], 0x58
	s_load_dwordx2 s[8:9], s[4:5], 0x0
	s_mul_i32 s4, s22, s21
	s_mul_hi_u32 s5, s22, s20
	s_mul_i32 s24, s22, s20
	s_add_i32 s5, s5, s4
	s_sub_u32 s34, s6, s24
	s_subb_u32 s4, 0, s5
	s_mul_hi_u32 s33, s34, 6
	s_mul_i32 s4, s4, 6
	v_cmp_lt_u64_e64 s25, s[10:11], 3
	s_mul_i32 s34, s34, 6
	s_add_i32 s33, s33, s4
	s_and_b32 vcc_lo, exec_lo, s25
	s_waitcnt lgkmcnt(0)
	s_mul_i32 s4, s18, s33
	s_mul_hi_u32 s5, s18, s34
	s_mul_i32 s24, s19, s34
	s_add_i32 s4, s5, s4
	s_mul_i32 s35, s18, s34
	s_add_i32 s36, s4, s24
	s_cbranch_vccnz .LBB0_14
; %bb.5:
	s_add_u32 s4, s14, 16
	s_addc_u32 s5, s15, 0
	s_add_u32 s12, s12, 16
	s_addc_u32 s13, s13, 0
	s_mov_b64 s[24:25], 2
	s_mov_b32 s26, 0
.LBB0_6:                                ; =>This Inner Loop Header: Depth=1
	s_load_dwordx2 s[28:29], s[12:13], 0x0
	s_waitcnt lgkmcnt(0)
	s_or_b64 s[30:31], s[22:23], s[28:29]
	s_mov_b32 s27, s31
                                        ; implicit-def: $sgpr30_sgpr31
	s_cmp_lg_u64 s[26:27], 0
	s_mov_b32 s27, -1
	s_cbranch_scc0 .LBB0_8
; %bb.7:                                ;   in Loop: Header=BB0_6 Depth=1
	v_cvt_f32_u32_e32 v1, s28
	v_cvt_f32_u32_e32 v2, s29
	s_sub_u32 s31, 0, s28
	s_subb_u32 s37, 0, s29
	v_fmac_f32_e32 v1, 0x4f800000, v2
	v_rcp_f32_e32 v1, v1
	v_mul_f32_e32 v1, 0x5f7ffffc, v1
	v_mul_f32_e32 v2, 0x2f800000, v1
	v_trunc_f32_e32 v2, v2
	v_fmac_f32_e32 v1, 0xcf800000, v2
	v_cvt_u32_f32_e32 v2, v2
	v_cvt_u32_f32_e32 v1, v1
	v_readfirstlane_b32 s27, v2
	v_readfirstlane_b32 s30, v1
	s_mul_i32 s38, s31, s27
	s_mul_hi_u32 s40, s31, s30
	s_mul_i32 s39, s37, s30
	s_add_i32 s38, s40, s38
	s_mul_i32 s41, s31, s30
	s_add_i32 s38, s38, s39
	s_mul_hi_u32 s40, s30, s41
	s_mul_hi_u32 s42, s27, s41
	s_mul_i32 s39, s27, s41
	s_mul_hi_u32 s41, s30, s38
	s_mul_i32 s30, s30, s38
	s_mul_hi_u32 s43, s27, s38
	s_add_u32 s30, s40, s30
	s_addc_u32 s40, 0, s41
	s_add_u32 s30, s30, s39
	s_mul_i32 s38, s27, s38
	s_addc_u32 s30, s40, s42
	s_addc_u32 s39, s43, 0
	s_add_u32 s30, s30, s38
	s_addc_u32 s38, 0, s39
	v_add_co_u32 v1, s30, v1, s30
	s_cmp_lg_u32 s30, 0
	s_addc_u32 s27, s27, s38
	v_readfirstlane_b32 s30, v1
	s_mul_i32 s38, s31, s27
	s_mul_hi_u32 s39, s31, s30
	s_mul_i32 s37, s37, s30
	s_add_i32 s38, s39, s38
	s_mul_i32 s31, s31, s30
	s_add_i32 s38, s38, s37
	s_mul_hi_u32 s39, s27, s31
	s_mul_i32 s40, s27, s31
	s_mul_hi_u32 s31, s30, s31
	s_mul_hi_u32 s41, s30, s38
	s_mul_i32 s30, s30, s38
	s_mul_hi_u32 s37, s27, s38
	s_add_u32 s30, s31, s30
	s_addc_u32 s31, 0, s41
	s_add_u32 s30, s30, s40
	s_mul_i32 s38, s27, s38
	s_addc_u32 s30, s31, s39
	s_addc_u32 s31, s37, 0
	s_add_u32 s30, s30, s38
	s_addc_u32 s31, 0, s31
	v_add_co_u32 v1, s30, v1, s30
	s_cmp_lg_u32 s30, 0
	s_addc_u32 s27, s27, s31
	v_readfirstlane_b32 s30, v1
	s_mul_i32 s37, s22, s27
	s_mul_hi_u32 s31, s22, s27
	s_mul_hi_u32 s38, s23, s27
	s_mul_i32 s27, s23, s27
	s_mul_hi_u32 s39, s22, s30
	s_mul_hi_u32 s40, s23, s30
	s_mul_i32 s30, s23, s30
	s_add_u32 s37, s39, s37
	s_addc_u32 s31, 0, s31
	s_add_u32 s30, s37, s30
	s_addc_u32 s30, s31, s40
	s_addc_u32 s31, s38, 0
	s_add_u32 s30, s30, s27
	s_addc_u32 s31, 0, s31
	s_mul_hi_u32 s27, s28, s30
	s_mul_i32 s38, s28, s31
	s_mul_i32 s39, s28, s30
	s_add_i32 s27, s27, s38
	v_sub_co_u32 v1, s38, s22, s39
	s_mul_i32 s37, s29, s30
	s_add_i32 s27, s27, s37
	v_sub_co_u32 v2, s39, v1, s28
	s_sub_i32 s37, s23, s27
	s_cmp_lg_u32 s38, 0
	s_subb_u32 s37, s37, s29
	s_cmp_lg_u32 s39, 0
	v_readfirstlane_b32 s39, v2
	s_subb_u32 s37, s37, 0
	s_cmp_ge_u32 s37, s29
	s_cselect_b32 s40, -1, 0
	s_cmp_ge_u32 s39, s28
	s_cselect_b32 s39, -1, 0
	s_cmp_eq_u32 s37, s29
	s_cselect_b32 s37, s39, s40
	s_add_u32 s39, s30, 1
	s_addc_u32 s40, s31, 0
	s_add_u32 s41, s30, 2
	s_addc_u32 s42, s31, 0
	s_cmp_lg_u32 s37, 0
	s_cselect_b32 s37, s41, s39
	s_cselect_b32 s39, s42, s40
	s_cmp_lg_u32 s38, 0
	v_readfirstlane_b32 s38, v1
	s_subb_u32 s27, s23, s27
	s_cmp_ge_u32 s27, s29
	s_cselect_b32 s40, -1, 0
	s_cmp_ge_u32 s38, s28
	s_cselect_b32 s38, -1, 0
	s_cmp_eq_u32 s27, s29
	s_cselect_b32 s27, s38, s40
	s_cmp_lg_u32 s27, 0
	s_mov_b32 s27, 0
	s_cselect_b32 s31, s39, s31
	s_cselect_b32 s30, s37, s30
.LBB0_8:                                ;   in Loop: Header=BB0_6 Depth=1
	s_andn2_b32 vcc_lo, exec_lo, s27
	s_cbranch_vccnz .LBB0_10
; %bb.9:                                ;   in Loop: Header=BB0_6 Depth=1
	v_cvt_f32_u32_e32 v1, s28
	s_sub_i32 s30, 0, s28
	v_rcp_iflag_f32_e32 v1, v1
	v_mul_f32_e32 v1, 0x4f7ffffe, v1
	v_cvt_u32_f32_e32 v1, v1
	v_readfirstlane_b32 s27, v1
	s_mul_i32 s30, s30, s27
	s_mul_hi_u32 s30, s27, s30
	s_add_i32 s27, s27, s30
	s_mul_hi_u32 s27, s22, s27
	s_mul_i32 s30, s27, s28
	s_add_i32 s31, s27, 1
	s_sub_i32 s30, s22, s30
	s_sub_i32 s37, s30, s28
	s_cmp_ge_u32 s30, s28
	s_cselect_b32 s27, s31, s27
	s_cselect_b32 s30, s37, s30
	s_add_i32 s31, s27, 1
	s_cmp_ge_u32 s30, s28
	s_cselect_b32 s30, s31, s27
	s_mov_b32 s31, s26
.LBB0_10:                               ;   in Loop: Header=BB0_6 Depth=1
	s_load_dwordx2 s[38:39], s[4:5], 0x0
	s_mul_i32 s21, s28, s21
	s_mul_hi_u32 s27, s28, s20
	s_mul_i32 s37, s29, s20
	s_mul_i32 s29, s30, s29
	s_mul_hi_u32 s40, s30, s28
	s_mul_i32 s41, s31, s28
	s_add_i32 s21, s27, s21
	s_add_i32 s27, s40, s29
	s_mul_i32 s42, s30, s28
	s_add_i32 s21, s21, s37
	s_add_i32 s27, s27, s41
	s_sub_u32 s22, s22, s42
	s_subb_u32 s23, s23, s27
	s_mul_i32 s20, s28, s20
	s_waitcnt lgkmcnt(0)
	s_mul_i32 s23, s38, s23
	s_mul_hi_u32 s27, s38, s22
	s_add_i32 s23, s27, s23
	s_mul_i32 s27, s39, s22
	s_mul_i32 s22, s38, s22
	s_add_i32 s23, s23, s27
	s_add_u32 s35, s22, s35
	s_addc_u32 s36, s23, s36
	s_add_u32 s24, s24, 1
	s_addc_u32 s25, s25, 0
	s_add_u32 s4, s4, 8
	v_cmp_ge_u64_e64 s22, s[24:25], s[10:11]
	s_addc_u32 s5, s5, 0
	s_add_u32 s12, s12, 8
	s_addc_u32 s13, s13, 0
	s_and_b32 vcc_lo, exec_lo, s22
	s_cbranch_vccnz .LBB0_12
; %bb.11:                               ;   in Loop: Header=BB0_6 Depth=1
	s_mov_b64 s[22:23], s[30:31]
	s_branch .LBB0_6
.LBB0_12:
	v_cmp_lt_u64_e64 s4, s[6:7], s[20:21]
	s_mov_b64 s[22:23], 0
	s_and_b32 vcc_lo, exec_lo, s4
	s_cbranch_vccnz .LBB0_14
; %bb.13:
	v_cvt_f32_u32_e32 v1, s20
	s_sub_i32 s5, 0, s20
	v_rcp_iflag_f32_e32 v1, v1
	v_mul_f32_e32 v1, 0x4f7ffffe, v1
	v_cvt_u32_f32_e32 v1, v1
	v_readfirstlane_b32 s4, v1
	s_mul_i32 s5, s5, s4
	s_mul_hi_u32 s5, s4, s5
	s_add_i32 s4, s4, s5
	s_mul_hi_u32 s4, s6, s4
	s_mul_i32 s5, s4, s20
	s_sub_i32 s5, s6, s5
	s_add_i32 s6, s4, 1
	s_sub_i32 s7, s5, s20
	s_cmp_ge_u32 s5, s20
	s_cselect_b32 s4, s6, s4
	s_cselect_b32 s5, s7, s5
	s_add_i32 s6, s4, 1
	s_cmp_ge_u32 s5, s20
	s_cselect_b32 s22, s6, s4
.LBB0_14:
	s_lshl_b64 s[4:5], s[10:11], 3
	v_mul_hi_u32 v35, 0x2aaaaaab, v0
	s_add_u32 s4, s14, s4
	s_addc_u32 s5, s15, s5
                                        ; implicit-def: $vgpr11_vgpr12
                                        ; implicit-def: $vgpr15_vgpr16
                                        ; implicit-def: $vgpr3_vgpr4
                                        ; implicit-def: $vgpr7_vgpr8
                                        ; implicit-def: $vgpr23_vgpr24
                                        ; implicit-def: $vgpr19_vgpr20
	s_load_dwordx2 s[4:5], s[4:5], 0x0
	v_mul_u32_u24_e32 v1, 6, v35
	v_sub_nc_u32_e32 v36, v0, v1
	v_add_co_u32 v33, s6, s34, v36
	v_add_co_ci_u32_e64 v34, null, s33, 0, s6
	s_waitcnt lgkmcnt(0)
	s_mul_i32 s5, s5, s22
	s_mul_hi_u32 s6, s4, s22
	s_mul_i32 s4, s4, s22
	s_add_i32 s6, s6, s5
	s_add_u32 s4, s4, s35
	s_addc_u32 s5, s6, s36
	s_add_u32 s6, s34, 6
	s_addc_u32 s7, s33, 0
	v_cmp_gt_u64_e32 vcc_lo, s[0:1], v[33:34]
	v_cmp_le_u64_e64 s6, s[6:7], s[0:1]
	v_add_nc_u32_e32 v34, 0xa8, v35
	s_or_b32 s0, s6, vcc_lo
	s_and_saveexec_b32 s1, s0
	s_cbranch_execz .LBB0_16
; %bb.15:
	v_mad_u64_u32 v[1:2], null, s18, v36, 0
	v_mad_u64_u32 v[3:4], null, s16, v35, 0
	v_add_nc_u32_e32 v13, 56, v35
	v_add_nc_u32_e32 v14, 0x70, v35
	s_lshl_b64 s[10:11], s[4:5], 4
	v_add_nc_u32_e32 v18, 0x118, v35
	s_add_u32 s0, s2, s10
	s_addc_u32 s7, s3, s11
	v_mad_u64_u32 v[5:6], null, s19, v36, v[2:3]
	v_mad_u64_u32 v[6:7], null, s16, v13, 0
	;; [unrolled: 1-line block ×4, first 2 shown]
	v_mov_b32_e32 v2, v5
	v_mov_b32_e32 v5, v7
	v_mad_u64_u32 v[9:10], null, s16, v34, 0
	v_lshlrev_b64 v[1:2], 4, v[1:2]
	v_mov_b32_e32 v4, v8
	v_mad_u64_u32 v[7:8], null, s17, v13, v[5:6]
	v_mov_b32_e32 v5, v12
	v_add_nc_u32_e32 v8, 0xe0, v35
	v_add_co_u32 v19, s0, s0, v1
	v_lshlrev_b64 v[3:4], 4, v[3:4]
	v_add_co_ci_u32_e64 v20, s0, s7, v2, s0
	v_mad_u64_u32 v[1:2], null, s17, v14, v[5:6]
	v_mad_u64_u32 v[13:14], null, s16, v8, 0
	v_mov_b32_e32 v2, v10
	v_lshlrev_b64 v[5:6], 4, v[6:7]
	v_mov_b32_e32 v12, v1
	v_mad_u64_u32 v[15:16], null, s17, v34, v[2:3]
	v_add_co_u32 v2, s0, v19, v3
	v_mad_u64_u32 v[16:17], null, s16, v18, 0
	v_add_co_ci_u32_e64 v3, s0, v20, v4, s0
	v_mov_b32_e32 v4, v14
	v_mov_b32_e32 v10, v15
	v_lshlrev_b64 v[11:12], 4, v[11:12]
	v_mov_b32_e32 v1, v17
	v_mad_u64_u32 v[7:8], null, s17, v8, v[4:5]
	v_add_co_u32 v4, s0, v19, v5
	v_mad_u64_u32 v[17:18], null, s17, v18, v[1:2]
	v_lshlrev_b64 v[8:9], 4, v[9:10]
	v_add_co_ci_u32_e64 v5, s0, v20, v6, s0
	v_mov_b32_e32 v14, v7
	v_add_co_u32 v6, s0, v19, v11
	v_add_co_ci_u32_e64 v7, s0, v20, v12, s0
	v_lshlrev_b64 v[10:11], 4, v[13:14]
	v_add_co_u32 v13, s0, v19, v8
	v_add_co_ci_u32_e64 v14, s0, v20, v9, s0
	v_lshlrev_b64 v[8:9], 4, v[16:17]
	v_add_co_u32 v25, s0, v19, v10
	v_add_co_ci_u32_e64 v26, s0, v20, v11, s0
	v_add_co_u32 v27, s0, v19, v8
	v_add_co_ci_u32_e64 v28, s0, v20, v9, s0
	s_clause 0x5
	global_load_dwordx4 v[17:20], v[2:3], off
	global_load_dwordx4 v[9:12], v[4:5], off
	;; [unrolled: 1-line block ×6, first 2 shown]
.LBB0_16:
	s_or_b32 exec_lo, exec_lo, s1
	s_waitcnt vmcnt(0)
	v_add_f64 v[25:26], v[15:16], v[7:8]
	v_add_f64 v[27:28], v[13:14], v[5:6]
	v_add_f64 v[29:30], v[13:14], -v[5:6]
	v_add_f64 v[31:32], v[15:16], -v[7:8]
	s_mov_b32 s0, 0xe8584caa
	s_mov_b32 s1, 0xbfebb67a
	;; [unrolled: 1-line block ×4, first 2 shown]
	v_add_f64 v[37:38], v[1:2], v[21:22]
	v_add_f64 v[39:40], v[3:4], v[23:24]
	;; [unrolled: 1-line block ×3, first 2 shown]
	v_add_f64 v[45:46], v[23:24], -v[3:4]
	v_add_f64 v[23:24], v[23:24], v[19:20]
	v_fma_f64 v[25:26], v[25:26], -0.5, v[11:12]
	v_fma_f64 v[27:28], v[27:28], -0.5, v[9:10]
	v_add_f64 v[9:10], v[9:10], v[13:14]
	v_add_f64 v[11:12], v[11:12], v[15:16]
	v_add_f64 v[15:16], v[21:22], -v[1:2]
	v_fma_f64 v[13:14], v[37:38], -0.5, v[17:18]
	v_fma_f64 v[17:18], v[39:40], -0.5, v[19:20]
	v_add_f64 v[37:38], v[1:2], v[43:44]
	v_add_f64 v[23:24], v[3:4], v[23:24]
	v_fma_f64 v[41:42], v[29:30], s[10:11], v[25:26]
	v_fma_f64 v[25:26], v[29:30], s[0:1], v[25:26]
	;; [unrolled: 1-line block ×4, first 2 shown]
	v_add_f64 v[5:6], v[9:10], v[5:6]
	v_add_f64 v[7:8], v[11:12], v[7:8]
	v_fma_f64 v[39:40], v[45:46], s[0:1], v[13:14]
	v_fma_f64 v[43:44], v[45:46], s[10:11], v[13:14]
	;; [unrolled: 1-line block ×4, first 2 shown]
	v_mul_f64 v[21:22], v[41:42], s[0:1]
	v_mul_f64 v[27:28], v[25:26], s[0:1]
	;; [unrolled: 1-line block ×3, first 2 shown]
	v_mul_f64 v[25:26], v[25:26], -0.5
	v_add_f64 v[1:2], v[5:6], v[37:38]
	v_add_f64 v[3:4], v[7:8], v[23:24]
	v_add_f64 v[9:10], v[37:38], -v[5:6]
	v_add_f64 v[11:12], v[23:24], -v[7:8]
	v_cmp_gt_u32_e64 s0, 0x120, v0
	v_fma_f64 v[17:18], v[29:30], 0.5, v[21:22]
	v_fma_f64 v[21:22], v[19:20], -0.5, v[27:28]
	v_fma_f64 v[27:28], v[41:42], 0.5, v[31:32]
	v_fma_f64 v[25:26], v[19:20], s[10:11], v[25:26]
	v_lshlrev_b32_e32 v29, 4, v36
	v_add_f64 v[5:6], v[39:40], v[17:18]
	v_add_f64 v[13:14], v[43:44], v[21:22]
	v_add_f64 v[7:8], v[45:46], v[27:28]
	v_add_f64 v[15:16], v[47:48], v[25:26]
	v_add_f64 v[17:18], v[39:40], -v[17:18]
	v_add_f64 v[21:22], v[43:44], -v[21:22]
	;; [unrolled: 1-line block ×4, first 2 shown]
	v_mad_u32_u24 v25, 0x240, v35, 0
                                        ; implicit-def: $vgpr27_vgpr28
	v_lshl_add_u32 v26, v36, 4, v25
	ds_write_b128 v26, v[1:4]
	ds_write_b128 v26, v[9:12] offset:288
	ds_write_b128 v26, v[5:8] offset:96
	ds_write_b128 v26, v[13:16] offset:192
	ds_write_b128 v26, v[17:20] offset:384
	ds_write_b128 v26, v[21:24] offset:480
	s_waitcnt lgkmcnt(0)
	s_barrier
	buffer_gl0_inv
	s_and_saveexec_b32 s1, s0
	s_cbranch_execz .LBB0_18
; %bb.17:
	v_mul_i32_i24_e32 v1, 0xfffffe20, v35
	v_add3_u32 v25, v25, v1, v29
	ds_read_b128 v[1:4], v25
	ds_read_b128 v[5:8], v25 offset:4608
	ds_read_b128 v[13:16], v25 offset:9216
	;; [unrolled: 1-line block ×6, first 2 shown]
.LBB0_18:
	s_or_b32 exec_lo, exec_lo, s1
	v_mul_hi_u32 v30, 0x2aaaaaab, v35
	s_mov_b32 s10, 0x37e14327
	s_mov_b32 s11, 0x3fe948f6
	;; [unrolled: 1-line block ×7, first 2 shown]
	v_mul_u32_u24_e32 v30, 6, v30
	s_mov_b32 s20, 0x5476071b
	s_mov_b32 s23, 0xbfd5d0dc
	;; [unrolled: 1-line block ×3, first 2 shown]
	v_sub_nc_u32_e32 v30, v35, v30
	v_mul_u32_u24_e32 v31, 6, v30
	v_lshlrev_b32_e32 v31, 4, v31
	s_clause 0x5
	global_load_dwordx4 v[37:40], v31, s[8:9]
	global_load_dwordx4 v[41:44], v31, s[8:9] offset:16
	global_load_dwordx4 v[45:48], v31, s[8:9] offset:80
	;; [unrolled: 1-line block ×5, first 2 shown]
	s_waitcnt vmcnt(0) lgkmcnt(0)
	s_barrier
	buffer_gl0_inv
	v_mul_f64 v[31:32], v[7:8], v[39:40]
	v_mul_f64 v[39:40], v[5:6], v[39:40]
	;; [unrolled: 1-line block ×12, first 2 shown]
	v_fma_f64 v[5:6], v[5:6], v[37:38], v[31:32]
	v_fma_f64 v[7:8], v[7:8], v[37:38], -v[39:40]
	v_fma_f64 v[13:14], v[13:14], v[41:42], v[61:62]
	v_fma_f64 v[15:16], v[15:16], v[41:42], -v[43:44]
	;; [unrolled: 2-line block ×6, first 2 shown]
	v_add_f64 v[31:32], v[5:6], v[25:26]
	v_add_f64 v[37:38], v[7:8], v[27:28]
	;; [unrolled: 1-line block ×4, first 2 shown]
	v_add_f64 v[13:14], v[13:14], -v[21:22]
	v_add_f64 v[15:16], v[15:16], -v[23:24]
	v_add_f64 v[43:44], v[9:10], v[17:18]
	v_add_f64 v[45:46], v[11:12], v[19:20]
	v_add_f64 v[9:10], v[17:18], -v[9:10]
	v_add_f64 v[11:12], v[19:20], -v[11:12]
	;; [unrolled: 1-line block ×4, first 2 shown]
	v_add_f64 v[17:18], v[39:40], v[31:32]
	v_add_f64 v[19:20], v[41:42], v[37:38]
	v_add_f64 v[21:22], v[31:32], -v[43:44]
	v_add_f64 v[23:24], v[37:38], -v[45:46]
	;; [unrolled: 1-line block ×10, first 2 shown]
	v_add_f64 v[13:14], v[9:10], v[13:14]
	v_add_f64 v[15:16], v[11:12], v[15:16]
	v_add_f64 v[9:10], v[5:6], -v[9:10]
	v_add_f64 v[11:12], v[7:8], -v[11:12]
	v_add_f64 v[17:18], v[43:44], v[17:18]
	v_add_f64 v[19:20], v[45:46], v[19:20]
	v_mul_f64 v[21:22], v[21:22], s[10:11]
	v_mul_f64 v[23:24], v[23:24], s[10:11]
	s_mov_b32 s10, 0x429ad128
	v_mul_f64 v[39:40], v[25:26], s[12:13]
	v_mul_f64 v[41:42], v[27:28], s[12:13]
	;; [unrolled: 1-line block ×4, first 2 shown]
	s_mov_b32 s11, 0xbfebfeb5
	s_mov_b32 s14, 0xaaaaaaaa
	v_mul_f64 v[47:48], v[51:52], s[10:11]
	v_mul_f64 v[49:50], v[53:54], s[10:11]
	s_mov_b32 s15, 0xbff2aaaa
	v_add_f64 v[5:6], v[13:14], v[5:6]
	v_add_f64 v[7:8], v[15:16], v[7:8]
	;; [unrolled: 1-line block ×4, first 2 shown]
	v_fma_f64 v[13:14], v[25:26], s[12:13], v[21:22]
	v_fma_f64 v[15:16], v[27:28], s[12:13], v[23:24]
	v_fma_f64 v[25:26], v[31:32], s[20:21], -v[39:40]
	v_fma_f64 v[27:28], v[37:38], s[20:21], -v[41:42]
	s_mov_b32 s21, 0xbfe77f67
	v_fma_f64 v[39:40], v[9:10], s[22:23], v[43:44]
	v_fma_f64 v[41:42], v[11:12], s[22:23], v[45:46]
	s_mov_b32 s23, 0x3fd5d0dc
	v_fma_f64 v[43:44], v[51:52], s[10:11], -v[43:44]
	v_fma_f64 v[45:46], v[53:54], s[10:11], -v[45:46]
	;; [unrolled: 1-line block ×6, first 2 shown]
	s_mov_b32 s10, 0x37c3f68c
	s_mov_b32 s11, 0xbfdc38aa
	v_fma_f64 v[17:18], v[17:18], s[14:15], v[1:2]
	v_fma_f64 v[19:20], v[19:20], s[14:15], v[3:4]
	;; [unrolled: 1-line block ×8, first 2 shown]
	v_add_f64 v[47:48], v[13:14], v[17:18]
	v_add_f64 v[49:50], v[15:16], v[19:20]
	;; [unrolled: 1-line block ×7, first 2 shown]
	v_add_f64 v[7:8], v[49:50], -v[31:32]
	v_add_f64 v[9:10], v[45:46], v[21:22]
	v_add_f64 v[11:12], v[23:24], -v[43:44]
	v_add_f64 v[13:14], v[17:18], -v[41:42]
	v_add_f64 v[15:16], v[39:40], v[19:20]
	v_add_f64 v[17:18], v[41:42], v[17:18]
	v_add_f64 v[19:20], v[19:20], -v[39:40]
	v_add_f64 v[21:22], v[21:22], -v[45:46]
	v_add_f64 v[23:24], v[43:44], v[23:24]
	v_add_f64 v[25:26], v[47:48], -v[37:38]
	v_add_f64 v[27:28], v[31:32], v[49:50]
	s_and_saveexec_b32 s1, s0
	s_cbranch_execz .LBB0_20
; %bb.19:
	v_mul_lo_u16 v31, v35, 43
	v_mov_b32_e32 v32, 0xffff
	v_and_b32_sdwa v31, v32, v31 dst_sel:DWORD dst_unused:UNUSED_PAD src0_sel:DWORD src1_sel:BYTE_1
	v_mad_u32_u24 v30, v31, 42, v30
	v_mul_i32_i24_e32 v30, 0x60, v30
	v_add3_u32 v30, 0, v30, v29
	ds_write_b128 v30, v[1:4]
	ds_write_b128 v30, v[5:8] offset:576
	ds_write_b128 v30, v[9:12] offset:1152
	;; [unrolled: 1-line block ×6, first 2 shown]
.LBB0_20:
	s_or_b32 exec_lo, exec_lo, s1
	v_cmp_gt_u32_e64 s0, 0xfc, v0
	s_waitcnt lgkmcnt(0)
	s_barrier
	buffer_gl0_inv
                                        ; implicit-def: $vgpr31_vgpr32
	s_and_saveexec_b32 s1, s0
	s_cbranch_execz .LBB0_22
; %bb.21:
	v_mul_u32_u24_e32 v0, 0x60, v35
	v_add3_u32 v0, 0, v0, v29
	ds_read_b128 v[1:4], v0
	ds_read_b128 v[5:8], v0 offset:4032
	ds_read_b128 v[9:12], v0 offset:8064
	;; [unrolled: 1-line block ×7, first 2 shown]
.LBB0_22:
	s_or_b32 exec_lo, exec_lo, s1
	v_mul_hi_u32 v0, 0x6186187, v35
	s_add_i32 s1, 0, 0x7e00
	s_mov_b32 s11, 0x3fe6a09e
	v_mul_u32_u24_e32 v0, 42, v0
	v_sub_nc_u32_e32 v0, v35, v0
	v_mul_lo_u32 v45, v0, v33
	v_mul_lo_u32 v33, v33, 42
	v_mul_u32_u24_e32 v0, 7, v0
	v_lshlrev_b32_e32 v0, 4, v0
	v_lshrrev_b32_e32 v37, 1, v45
	v_add_nc_u32_e32 v53, v45, v33
	v_and_b32_e32 v38, 31, v45
	v_lshrrev_b32_e32 v55, 6, v45
	v_and_b32_e32 v37, 0x1f0, v37
	v_lshrrev_b32_e32 v39, 1, v53
	v_add_nc_u32_e32 v61, v53, v33
	v_and_b32_e32 v40, 31, v53
	v_lshl_add_u32 v38, v38, 4, 0
	v_add_nc_u32_e32 v41, s1, v37
	v_and_b32_e32 v46, 0x1f0, v39
	v_lshrrev_b32_e32 v48, 1, v61
	v_lshl_add_u32 v47, v40, 4, 0
	v_and_b32_e32 v49, 31, v61
	ds_read_b128 v[37:40], v38 offset:32256
	ds_read_b128 v[41:44], v41 offset:512
	v_add_nc_u32_e32 v50, s1, v46
	v_and_b32_e32 v54, 0x1f0, v48
	ds_read_b128 v[45:48], v47 offset:32256
	v_lshl_add_u32 v56, v49, 4, 0
	v_and_b32_e32 v62, 0x1f0, v55
	ds_read_b128 v[49:52], v50 offset:512
	v_add_nc_u32_e32 v57, s1, v54
	v_lshrrev_b32_e32 v63, 6, v53
	ds_read_b128 v[53:56], v56 offset:32256
	ds_read_b128 v[57:60], v57 offset:512
	v_add_nc_u32_e32 v69, v61, v33
	v_lshrrev_b32_e32 v83, 6, v61
	v_and_b32_e32 v65, 0x1f0, v63
	v_add_nc_u32_e32 v62, s1, v62
	v_add_nc_u32_e32 v95, v69, v33
	v_lshrrev_b32_e32 v84, 6, v69
	v_lshrrev_b32_e32 v66, 1, v69
	s_waitcnt lgkmcnt(4)
	v_mul_f64 v[77:78], v[39:40], v[43:44]
	v_mul_f64 v[43:44], v[37:38], v[43:44]
	v_and_b32_e32 v83, 0x1f0, v83
	v_lshrrev_b32_e32 v85, 1, v95
	v_and_b32_e32 v86, 31, v95
	v_and_b32_e32 v84, 0x1f0, v84
	s_waitcnt lgkmcnt(2)
	v_mul_f64 v[79:80], v[47:48], v[51:52]
	v_mul_f64 v[51:52], v[45:46], v[51:52]
	v_and_b32_e32 v67, 31, v69
	v_and_b32_e32 v70, 0x1f0, v66
	v_add_nc_u32_e32 v87, s1, v83
	s_waitcnt lgkmcnt(0)
	v_mul_f64 v[81:82], v[55:56], v[59:60]
	v_and_b32_e32 v85, 0x1f0, v85
	v_lshl_add_u32 v88, v86, 4, 0
	v_add_nc_u32_e32 v86, s1, v84
	v_add_nc_u32_e32 v65, s1, v65
	v_lshl_add_u32 v73, v67, 4, 0
	v_add_nc_u32_e32 v70, s1, v70
	v_mul_f64 v[59:60], v[53:54], v[59:60]
	ds_read_b128 v[61:64], v62 offset:1024
	ds_read_b128 v[65:68], v65 offset:1024
	ds_read_b128 v[73:76], v73 offset:32256
	v_fma_f64 v[77:78], v[37:38], v[41:42], -v[77:78]
	v_fma_f64 v[83:84], v[39:40], v[41:42], v[43:44]
	ds_read_b128 v[37:40], v87 offset:1024
	ds_read_b128 v[41:44], v86 offset:1024
	v_add_nc_u32_e32 v87, s1, v85
	ds_read_b128 v[69:72], v70 offset:512
	v_fma_f64 v[79:80], v[45:46], v[49:50], -v[79:80]
	v_fma_f64 v[85:86], v[47:48], v[49:50], v[51:52]
	ds_read_b128 v[45:48], v88 offset:32256
	ds_read_b128 v[49:52], v87 offset:512
	v_add_nc_u32_e32 v97, v95, v33
	v_fma_f64 v[81:82], v[53:54], v[57:58], -v[81:82]
	v_lshrrev_b32_e32 v53, 1, v97
	v_and_b32_e32 v54, 31, v97
	v_fma_f64 v[89:90], v[55:56], v[57:58], v[59:60]
	v_and_b32_e32 v53, 0x1f0, v53
	v_lshl_add_u32 v55, v54, 4, 0
	v_add_nc_u32_e32 v53, s1, v53
	s_waitcnt lgkmcnt(2)
	v_mul_f64 v[87:88], v[75:76], v[71:72]
	v_mul_f64 v[71:72], v[73:74], v[71:72]
	s_waitcnt lgkmcnt(0)
	v_mul_f64 v[59:60], v[47:48], v[51:52]
	v_mul_f64 v[91:92], v[45:46], v[51:52]
	ds_read_b128 v[51:54], v53 offset:512
	ds_read_b128 v[55:58], v55 offset:32256
	v_fma_f64 v[87:88], v[73:74], v[69:70], -v[87:88]
	v_fma_f64 v[93:94], v[75:76], v[69:70], v[71:72]
	v_lshrrev_b32_e32 v69, 6, v95
	v_fma_f64 v[95:96], v[45:46], v[49:50], -v[59:60]
	v_fma_f64 v[91:92], v[47:48], v[49:50], v[91:92]
	s_waitcnt lgkmcnt(0)
	v_mul_f64 v[49:50], v[57:58], v[53:54]
	v_mul_f64 v[53:54], v[55:56], v[53:54]
	v_add_nc_u32_e32 v59, v97, v33
	v_lshrrev_b32_e32 v70, 6, v97
	v_and_b32_e32 v69, 0x1f0, v69
	v_add_nc_u32_e32 v33, v59, v33
	v_and_b32_e32 v70, 0x1f0, v70
	v_add_nc_u32_e32 v69, s1, v69
	v_add_nc_u32_e32 v70, s1, v70
	ds_read_b128 v[45:48], v69 offset:1024
	ds_read_b128 v[69:72], v70 offset:1024
	v_fma_f64 v[97:98], v[55:56], v[51:52], -v[49:50]
	v_lshrrev_b32_e32 v49, 1, v59
	v_and_b32_e32 v50, 31, v59
	v_fma_f64 v[99:100], v[57:58], v[51:52], v[53:54]
	v_and_b32_e32 v49, 0x1f0, v49
	v_lshl_add_u32 v50, v50, 4, 0
	v_add_nc_u32_e32 v53, s1, v49
	ds_read_b128 v[49:52], v50 offset:32256
	ds_read_b128 v[53:56], v53 offset:512
	s_waitcnt lgkmcnt(0)
	v_mul_f64 v[57:58], v[51:52], v[55:56]
	v_fma_f64 v[101:102], v[49:50], v[53:54], -v[57:58]
	v_mul_f64 v[49:50], v[49:50], v[55:56]
	v_fma_f64 v[103:104], v[51:52], v[53:54], v[49:50]
	v_lshrrev_b32_e32 v49, 1, v33
	v_lshrrev_b32_e32 v50, 6, v59
	;; [unrolled: 1-line block ×3, first 2 shown]
	v_and_b32_e32 v33, 31, v33
	v_and_b32_e32 v49, 0x1f0, v49
	;; [unrolled: 1-line block ×4, first 2 shown]
	v_lshl_add_u32 v33, v33, 4, 0
	v_add_nc_u32_e32 v49, s1, v49
	v_add_nc_u32_e32 v57, s1, v50
	;; [unrolled: 1-line block ×3, first 2 shown]
	ds_read_b128 v[49:52], v49 offset:512
	ds_read_b128 v[53:56], v33 offset:32256
	;; [unrolled: 1-line block ×4, first 2 shown]
	s_and_b32 s1, s0, s6
	s_waitcnt lgkmcnt(2)
	v_mul_f64 v[105:106], v[55:56], v[51:52]
	v_mul_f64 v[51:52], v[53:54], v[51:52]
	v_fma_f64 v[105:106], v[53:54], v[49:50], -v[105:106]
	v_fma_f64 v[107:108], v[55:56], v[49:50], v[51:52]
	s_clause 0x1
	global_load_dwordx4 v[49:52], v0, s[8:9] offset:576
	global_load_dwordx4 v[53:56], v0, s[8:9] offset:592
	s_waitcnt vmcnt(1)
	v_mul_f64 v[109:110], v[7:8], v[51:52]
	v_fma_f64 v[109:110], v[5:6], v[49:50], v[109:110]
	v_mul_f64 v[5:6], v[5:6], v[51:52]
	v_fma_f64 v[49:50], v[7:8], v[49:50], -v[5:6]
	s_waitcnt vmcnt(0)
	v_mul_f64 v[5:6], v[11:12], v[55:56]
	v_fma_f64 v[51:52], v[9:10], v[53:54], v[5:6]
	v_mul_f64 v[5:6], v[9:10], v[55:56]
	v_fma_f64 v[53:54], v[11:12], v[53:54], -v[5:6]
	s_clause 0x1
	global_load_dwordx4 v[5:8], v0, s[8:9] offset:608
	global_load_dwordx4 v[9:12], v0, s[8:9] offset:624
	s_waitcnt vmcnt(1)
	v_mul_f64 v[55:56], v[15:16], v[7:8]
	v_mul_f64 v[7:8], v[13:14], v[7:8]
	v_fma_f64 v[55:56], v[13:14], v[5:6], v[55:56]
	v_fma_f64 v[13:14], v[15:16], v[5:6], -v[7:8]
	s_waitcnt vmcnt(0)
	v_mul_f64 v[5:6], v[19:20], v[11:12]
	v_fma_f64 v[15:16], v[17:18], v[9:10], v[5:6]
	v_mul_f64 v[5:6], v[17:18], v[11:12]
	v_add_f64 v[15:16], v[1:2], -v[15:16]
	v_fma_f64 v[17:18], v[19:20], v[9:10], -v[5:6]
	s_clause 0x1
	global_load_dwordx4 v[5:8], v0, s[8:9] offset:640
	global_load_dwordx4 v[9:12], v0, s[8:9] offset:656
	v_add_f64 v[17:18], v[3:4], -v[17:18]
	s_waitcnt vmcnt(1)
	v_mul_f64 v[19:20], v[23:24], v[7:8]
	v_mul_f64 v[7:8], v[21:22], v[7:8]
	v_fma_f64 v[19:20], v[21:22], v[5:6], v[19:20]
	v_fma_f64 v[21:22], v[23:24], v[5:6], -v[7:8]
	s_waitcnt vmcnt(0)
	v_mul_f64 v[5:6], v[27:28], v[11:12]
	v_add_f64 v[19:20], v[109:110], -v[19:20]
	v_add_f64 v[21:22], v[49:50], -v[21:22]
	v_fma_f64 v[23:24], v[25:26], v[9:10], v[5:6]
	v_mul_f64 v[5:6], v[25:26], v[11:12]
	v_fma_f64 v[49:50], v[49:50], 2.0, -v[21:22]
	v_add_f64 v[23:24], v[51:52], -v[23:24]
	v_fma_f64 v[9:10], v[27:28], v[9:10], -v[5:6]
	global_load_dwordx4 v[5:8], v0, s[8:9] offset:672
	v_fma_f64 v[0:1], v[1:2], 2.0, -v[15:16]
	v_fma_f64 v[2:3], v[3:4], 2.0, -v[17:18]
	s_mov_b32 s8, 0x667f3bcd
	s_mov_b32 s9, 0xbfe6a09e
	s_mov_b32 s10, s8
	v_fma_f64 v[51:52], v[51:52], 2.0, -v[23:24]
	v_add_f64 v[9:10], v[53:54], -v[9:10]
	v_add_f64 v[23:24], v[17:18], -v[23:24]
	v_add_f64 v[51:52], v[0:1], -v[51:52]
	v_fma_f64 v[53:54], v[53:54], 2.0, -v[9:10]
	v_add_f64 v[9:10], v[15:16], v[9:10]
	v_fma_f64 v[17:18], v[17:18], 2.0, -v[23:24]
	v_fma_f64 v[0:1], v[0:1], 2.0, -v[51:52]
	v_add_f64 v[53:54], v[2:3], -v[53:54]
	v_fma_f64 v[15:16], v[15:16], 2.0, -v[9:10]
	v_fma_f64 v[2:3], v[2:3], 2.0, -v[53:54]
	s_waitcnt vmcnt(0)
	v_mul_f64 v[11:12], v[31:32], v[7:8]
	v_mul_f64 v[7:8], v[29:30], v[7:8]
	v_fma_f64 v[11:12], v[29:30], v[5:6], v[11:12]
	v_fma_f64 v[5:6], v[31:32], v[5:6], -v[7:8]
	v_mul_f64 v[7:8], v[83:84], v[63:64]
	v_mul_f64 v[28:29], v[85:86], v[67:68]
	;; [unrolled: 1-line block ×4, first 2 shown]
	v_add_f64 v[11:12], v[55:56], -v[11:12]
	v_add_f64 v[4:5], v[13:14], -v[5:6]
	v_fma_f64 v[26:27], v[61:62], v[77:78], -v[7:8]
	v_mul_f64 v[7:8], v[77:78], v[63:64]
	v_fma_f64 v[30:31], v[65:66], v[79:80], -v[28:29]
	v_mul_f64 v[28:29], v[79:80], v[67:68]
	v_fma_f64 v[32:33], v[37:38], v[81:82], -v[32:33]
	v_fma_f64 v[37:38], v[37:38], v[89:90], v[39:40]
	v_mul_f64 v[39:40], v[93:94], v[43:44]
	v_mul_f64 v[43:44], v[87:88], v[43:44]
	;; [unrolled: 1-line block ×3, first 2 shown]
	v_fma_f64 v[55:56], v[55:56], 2.0, -v[11:12]
	v_add_f64 v[11:12], v[21:22], -v[11:12]
	v_fma_f64 v[13:14], v[13:14], 2.0, -v[4:5]
	v_fma_f64 v[7:8], v[61:62], v[83:84], v[7:8]
	v_fma_f64 v[61:62], v[109:110], 2.0, -v[19:20]
	v_add_f64 v[4:5], v[19:20], v[4:5]
	v_fma_f64 v[28:29], v[65:66], v[85:86], v[28:29]
	v_fma_f64 v[39:40], v[41:42], v[87:88], -v[39:40]
	v_fma_f64 v[41:42], v[41:42], v[93:94], v[43:44]
	v_fma_f64 v[21:22], v[21:22], 2.0, -v[11:12]
	v_add_f64 v[13:14], v[49:50], -v[13:14]
	v_fma_f64 v[65:66], v[11:12], s[10:11], v[23:24]
	v_add_f64 v[55:56], v[61:62], -v[55:56]
	v_fma_f64 v[19:20], v[19:20], 2.0, -v[4:5]
	v_fma_f64 v[63:64], v[4:5], s[10:11], v[9:10]
	v_fma_f64 v[43:44], v[21:22], s[8:9], v[17:18]
	v_fma_f64 v[49:50], v[49:50], 2.0, -v[13:14]
	v_fma_f64 v[65:66], v[4:5], s[8:9], v[65:66]
	v_fma_f64 v[61:62], v[61:62], 2.0, -v[55:56]
	v_fma_f64 v[67:68], v[19:20], s[8:9], v[15:16]
	v_fma_f64 v[11:12], v[11:12], s[10:11], v[63:64]
	s_waitcnt lgkmcnt(1)
	v_mul_f64 v[63:64], v[101:102], v[59:60]
	s_waitcnt lgkmcnt(0)
	v_mul_f64 v[4:5], v[105:106], v[75:76]
	v_add_f64 v[55:56], v[53:54], -v[55:56]
	v_add_f64 v[13:14], v[51:52], v[13:14]
	v_mul_f64 v[59:60], v[103:104], v[59:60]
	v_mul_f64 v[75:76], v[107:108], v[75:76]
	v_fma_f64 v[43:44], v[19:20], s[8:9], v[43:44]
	v_mul_f64 v[19:20], v[97:98], v[71:72]
	v_add_f64 v[49:50], v[2:3], -v[49:50]
	v_add_f64 v[61:62], v[0:1], -v[61:62]
	v_fma_f64 v[67:68], v[21:22], s[10:11], v[67:68]
	v_mul_f64 v[21:22], v[91:92], v[47:48]
	v_fma_f64 v[47:48], v[45:46], v[91:92], v[77:78]
	v_mul_f64 v[71:72], v[99:100], v[71:72]
	v_fma_f64 v[63:64], v[57:58], v[103:104], v[63:64]
	v_fma_f64 v[4:5], v[73:74], v[107:108], v[4:5]
	v_fma_f64 v[53:54], v[53:54], 2.0, -v[55:56]
	v_fma_f64 v[51:52], v[51:52], 2.0, -v[13:14]
	;; [unrolled: 1-line block ×5, first 2 shown]
	v_fma_f64 v[19:20], v[69:70], v[99:100], v[19:20]
	v_fma_f64 v[2:3], v[2:3], 2.0, -v[49:50]
	v_fma_f64 v[77:78], v[0:1], 2.0, -v[61:62]
	;; [unrolled: 1-line block ×3, first 2 shown]
	v_fma_f64 v[15:16], v[45:46], v[95:96], -v[21:22]
	v_fma_f64 v[0:1], v[57:58], v[101:102], -v[59:60]
	;; [unrolled: 1-line block ×4, first 2 shown]
	v_mul_f64 v[17:18], v[55:56], v[63:64]
	v_mul_f64 v[21:22], v[13:14], v[63:64]
	v_mul_f64 v[59:60], v[65:66], v[4:5]
	v_mul_f64 v[63:64], v[53:54], v[37:38]
	v_mul_f64 v[37:38], v[51:52], v[37:38]
	v_mul_f64 v[69:70], v[24:25], v[41:42]
	v_mul_f64 v[41:42], v[9:10], v[41:42]
	v_mul_f64 v[71:72], v[49:50], v[47:48]
	v_mul_f64 v[47:48], v[61:62], v[47:48]
	v_mul_f64 v[91:92], v[11:12], v[4:5]
	v_mul_f64 v[87:88], v[79:80], v[28:29]
	v_mul_f64 v[73:74], v[43:44], v[19:20]
	v_mul_f64 v[75:76], v[67:68], v[19:20]
	v_mul_f64 v[83:84], v[2:3], v[7:8]
	v_mul_f64 v[85:86], v[77:78], v[7:8]
	v_mul_f64 v[89:90], v[81:82], v[28:29]
	v_fma_f64 v[4:5], v[13:14], v[0:1], v[17:18]
	v_fma_f64 v[6:7], v[55:56], v[0:1], -v[21:22]
	v_fma_f64 v[0:1], v[11:12], v[57:58], v[59:60]
	v_fma_f64 v[20:21], v[51:52], v[32:33], v[63:64]
	v_fma_f64 v[22:23], v[53:54], v[32:33], -v[37:38]
	v_fma_f64 v[8:9], v[9:10], v[39:40], v[69:70]
	v_fma_f64 v[10:11], v[24:25], v[39:40], -v[41:42]
	;; [unrolled: 2-line block ×3, first 2 shown]
	v_add_nc_u32_e32 v40, 42, v35
	v_add_nc_u32_e32 v39, 0x54, v35
	;; [unrolled: 1-line block ×4, first 2 shown]
	v_fma_f64 v[28:29], v[81:82], v[30:31], v[87:88]
	v_fma_f64 v[16:17], v[67:68], v[45:46], v[73:74]
	v_fma_f64 v[18:19], v[43:44], v[45:46], -v[75:76]
	v_fma_f64 v[24:25], v[77:78], v[26:27], v[83:84]
	v_fma_f64 v[26:27], v[2:3], v[26:27], -v[85:86]
	v_fma_f64 v[30:31], v[79:80], v[30:31], -v[89:90]
	;; [unrolled: 1-line block ×3, first 2 shown]
	v_add_nc_u32_e32 v33, 0xfc, v35
	v_add_nc_u32_e32 v32, 0x126, v35
	s_and_saveexec_b32 s7, s1
	s_cbranch_execz .LBB0_24
; %bb.23:
	v_mad_u64_u32 v[41:42], null, s18, v36, 0
	v_mad_u64_u32 v[43:44], null, s16, v35, 0
	;; [unrolled: 1-line block ×3, first 2 shown]
	s_lshl_b64 s[8:9], s[4:5], 4
	s_add_u32 s1, s2, s8
	s_addc_u32 s8, s3, s9
	v_mad_u64_u32 v[47:48], null, s19, v36, v[42:43]
	v_mad_u64_u32 v[48:49], null, s16, v39, 0
	v_mov_b32_e32 v42, v46
	v_mad_u64_u32 v[50:51], null, s17, v35, v[44:45]
	v_mad_u64_u32 v[51:52], null, s17, v40, v[42:43]
	v_mov_b32_e32 v42, v47
	v_mov_b32_e32 v46, v49
	;; [unrolled: 1-line block ×3, first 2 shown]
	v_lshlrev_b64 v[41:42], 4, v[41:42]
	v_mad_u64_u32 v[49:50], null, s17, v39, v[46:47]
	v_mov_b32_e32 v46, v51
	v_lshlrev_b64 v[43:44], 4, v[43:44]
	v_mad_u64_u32 v[51:52], null, s16, v33, 0
	v_add_co_u32 v56, s1, s1, v41
	v_add_co_ci_u32_e64 v57, s1, s8, v42, s1
	v_lshlrev_b64 v[41:42], 4, v[45:46]
	v_add_co_u32 v43, s1, v56, v43
	v_add_co_ci_u32_e64 v44, s1, v57, v44, s1
	v_mad_u64_u32 v[45:46], null, s16, v38, 0
	v_add_co_u32 v41, s1, v56, v41
	v_add_co_ci_u32_e64 v42, s1, v57, v42, s1
	global_store_dwordx4 v[43:44], v[24:27], off
	global_store_dwordx4 v[41:42], v[28:31], off
	v_lshlrev_b64 v[41:42], 4, v[48:49]
	v_mad_u64_u32 v[47:48], null, s16, v34, 0
	v_mov_b32_e32 v43, v46
	v_mad_u64_u32 v[49:50], null, s16, v37, 0
	v_add_co_u32 v41, s1, v56, v41
	v_mad_u64_u32 v[43:44], null, s17, v38, v[43:44]
	v_mov_b32_e32 v44, v48
	v_add_co_ci_u32_e64 v42, s1, v57, v42, s1
	v_mov_b32_e32 v46, v50
	v_mad_u64_u32 v[53:54], null, s17, v34, v[44:45]
	global_store_dwordx4 v[41:42], v[20:23], off
	v_mad_u64_u32 v[54:55], null, s17, v37, v[46:47]
	v_mov_b32_e32 v46, v43
	v_mad_u64_u32 v[43:44], null, s16, v32, 0
	v_mov_b32_e32 v41, v52
	v_mov_b32_e32 v48, v53
	v_lshlrev_b64 v[45:46], 4, v[45:46]
	v_mov_b32_e32 v50, v54
	v_mad_u64_u32 v[41:42], null, s17, v33, v[41:42]
	v_mov_b32_e32 v42, v44
	v_lshlrev_b64 v[47:48], 4, v[47:48]
	v_add_co_u32 v45, s1, v56, v45
	v_add_co_ci_u32_e64 v46, s1, v57, v46, s1
	v_mad_u64_u32 v[53:54], null, s17, v32, v[42:43]
	v_mov_b32_e32 v52, v41
	v_lshlrev_b64 v[49:50], 4, v[49:50]
	v_add_co_u32 v41, s1, v56, v47
	v_add_co_ci_u32_e64 v42, s1, v57, v48, s1
	v_mov_b32_e32 v44, v53
	v_lshlrev_b64 v[47:48], 4, v[51:52]
	v_add_co_u32 v49, s1, v56, v49
	v_add_co_ci_u32_e64 v50, s1, v57, v50, s1
	v_lshlrev_b64 v[43:44], 4, v[43:44]
	v_add_co_u32 v47, s1, v56, v47
	v_add_co_ci_u32_e64 v48, s1, v57, v48, s1
	v_add_co_u32 v43, s1, v56, v43
	v_add_co_ci_u32_e64 v44, s1, v57, v44, s1
	global_store_dwordx4 v[45:46], v[8:11], off
	global_store_dwordx4 v[41:42], v[12:15], off
	;; [unrolled: 1-line block ×5, first 2 shown]
.LBB0_24:
	s_or_b32 exec_lo, exec_lo, s7
	s_xor_b32 s1, s6, -1
	s_and_b32 s0, s0, vcc_lo
	s_and_b32 s0, s1, s0
	s_and_saveexec_b32 s1, s0
	s_cbranch_execz .LBB0_26
; %bb.25:
	v_mad_u64_u32 v[41:42], null, s18, v36, 0
	v_mad_u64_u32 v[43:44], null, s16, v35, 0
	;; [unrolled: 1-line block ×3, first 2 shown]
	s_lshl_b64 s[0:1], s[4:5], 4
	s_add_u32 s0, s2, s0
	s_addc_u32 s1, s3, s1
	v_mad_u64_u32 v[47:48], null, s19, v36, v[42:43]
	v_mov_b32_e32 v36, v46
	v_mad_u64_u32 v[48:49], null, s16, v39, 0
	v_mad_u64_u32 v[50:51], null, s17, v35, v[44:45]
	;; [unrolled: 1-line block ×3, first 2 shown]
	v_mov_b32_e32 v42, v47
	v_mov_b32_e32 v36, v49
	;; [unrolled: 1-line block ×3, first 2 shown]
	v_lshlrev_b64 v[40:41], 4, v[41:42]
	v_mov_b32_e32 v46, v35
	v_mad_u64_u32 v[49:50], null, s17, v39, v[36:37]
	v_lshlrev_b64 v[35:36], 4, v[43:44]
	v_add_co_u32 v43, vcc_lo, s0, v40
	v_add_co_ci_u32_e32 v44, vcc_lo, s1, v41, vcc_lo
	v_lshlrev_b64 v[39:40], 4, v[45:46]
	v_add_co_u32 v35, vcc_lo, v43, v35
	v_add_co_ci_u32_e32 v36, vcc_lo, v44, v36, vcc_lo
	v_mad_u64_u32 v[41:42], null, s16, v38, 0
	v_add_co_u32 v39, vcc_lo, v43, v39
	v_add_co_ci_u32_e32 v40, vcc_lo, v44, v40, vcc_lo
	global_store_dwordx4 v[35:36], v[24:27], off
	global_store_dwordx4 v[39:40], v[28:31], off
	v_mad_u64_u32 v[27:28], null, s16, v34, 0
	v_mov_b32_e32 v26, v42
	v_lshlrev_b64 v[24:25], 4, v[48:49]
	v_mad_u64_u32 v[29:30], null, s16, v37, 0
	v_mad_u64_u32 v[35:36], null, s17, v38, v[26:27]
	v_add_co_u32 v24, vcc_lo, v43, v24
	v_mov_b32_e32 v26, v28
	v_mad_u64_u32 v[38:39], null, s16, v33, 0
	v_add_co_ci_u32_e32 v25, vcc_lo, v44, v25, vcc_lo
	v_mov_b32_e32 v42, v35
	v_mov_b32_e32 v28, v30
	v_mad_u64_u32 v[30:31], null, s17, v34, v[26:27]
	v_mad_u64_u32 v[34:35], null, s16, v32, 0
	global_store_dwordx4 v[24:25], v[20:23], off
	v_lshlrev_b64 v[21:22], 4, v[41:42]
	v_mov_b32_e32 v20, v39
	v_mad_u64_u32 v[36:37], null, s17, v37, v[28:29]
	v_mov_b32_e32 v28, v30
	v_mad_u64_u32 v[23:24], null, s17, v33, v[20:21]
	v_mov_b32_e32 v20, v35
	v_add_co_u32 v21, vcc_lo, v43, v21
	v_mov_b32_e32 v30, v36
	v_lshlrev_b64 v[24:25], 4, v[27:28]
	v_add_co_ci_u32_e32 v22, vcc_lo, v44, v22, vcc_lo
	v_mad_u64_u32 v[26:27], null, s17, v32, v[20:21]
	v_lshlrev_b64 v[27:28], 4, v[29:30]
	v_mov_b32_e32 v39, v23
	v_add_co_u32 v23, vcc_lo, v43, v24
	v_add_co_ci_u32_e32 v24, vcc_lo, v44, v25, vcc_lo
	v_mov_b32_e32 v35, v26
	v_lshlrev_b64 v[29:30], 4, v[38:39]
	v_add_co_u32 v25, vcc_lo, v43, v27
	v_add_co_ci_u32_e32 v26, vcc_lo, v44, v28, vcc_lo
	v_lshlrev_b64 v[27:28], 4, v[34:35]
	v_add_co_u32 v29, vcc_lo, v43, v29
	v_add_co_ci_u32_e32 v30, vcc_lo, v44, v30, vcc_lo
	v_add_co_u32 v27, vcc_lo, v43, v27
	v_add_co_ci_u32_e32 v28, vcc_lo, v44, v28, vcc_lo
	global_store_dwordx4 v[21:22], v[8:11], off
	global_store_dwordx4 v[23:24], v[12:15], off
	;; [unrolled: 1-line block ×5, first 2 shown]
.LBB0_26:
	s_endpgm
	.section	.rodata,"a",@progbits
	.p2align	6, 0x0
	.amdhsa_kernel fft_rtc_back_len336_factors_6_7_8_wgs_336_tpt_56_dp_ip_CI_sbcc_twdbase5_3step_dirReg
		.amdhsa_group_segment_fixed_size 0
		.amdhsa_private_segment_fixed_size 0
		.amdhsa_kernarg_size 96
		.amdhsa_user_sgpr_count 6
		.amdhsa_user_sgpr_private_segment_buffer 1
		.amdhsa_user_sgpr_dispatch_ptr 0
		.amdhsa_user_sgpr_queue_ptr 0
		.amdhsa_user_sgpr_kernarg_segment_ptr 1
		.amdhsa_user_sgpr_dispatch_id 0
		.amdhsa_user_sgpr_flat_scratch_init 0
		.amdhsa_user_sgpr_private_segment_size 0
		.amdhsa_wavefront_size32 1
		.amdhsa_uses_dynamic_stack 0
		.amdhsa_system_sgpr_private_segment_wavefront_offset 0
		.amdhsa_system_sgpr_workgroup_id_x 1
		.amdhsa_system_sgpr_workgroup_id_y 0
		.amdhsa_system_sgpr_workgroup_id_z 0
		.amdhsa_system_sgpr_workgroup_info 0
		.amdhsa_system_vgpr_workitem_id 0
		.amdhsa_next_free_vgpr 111
		.amdhsa_next_free_sgpr 44
		.amdhsa_reserve_vcc 1
		.amdhsa_reserve_flat_scratch 0
		.amdhsa_float_round_mode_32 0
		.amdhsa_float_round_mode_16_64 0
		.amdhsa_float_denorm_mode_32 3
		.amdhsa_float_denorm_mode_16_64 3
		.amdhsa_dx10_clamp 1
		.amdhsa_ieee_mode 1
		.amdhsa_fp16_overflow 0
		.amdhsa_workgroup_processor_mode 1
		.amdhsa_memory_ordered 1
		.amdhsa_forward_progress 0
		.amdhsa_shared_vgpr_count 0
		.amdhsa_exception_fp_ieee_invalid_op 0
		.amdhsa_exception_fp_denorm_src 0
		.amdhsa_exception_fp_ieee_div_zero 0
		.amdhsa_exception_fp_ieee_overflow 0
		.amdhsa_exception_fp_ieee_underflow 0
		.amdhsa_exception_fp_ieee_inexact 0
		.amdhsa_exception_int_div_zero 0
	.end_amdhsa_kernel
	.text
.Lfunc_end0:
	.size	fft_rtc_back_len336_factors_6_7_8_wgs_336_tpt_56_dp_ip_CI_sbcc_twdbase5_3step_dirReg, .Lfunc_end0-fft_rtc_back_len336_factors_6_7_8_wgs_336_tpt_56_dp_ip_CI_sbcc_twdbase5_3step_dirReg
                                        ; -- End function
	.section	.AMDGPU.csdata,"",@progbits
; Kernel info:
; codeLenInByte = 7212
; NumSgprs: 46
; NumVgprs: 111
; ScratchSize: 0
; MemoryBound: 1
; FloatMode: 240
; IeeeMode: 1
; LDSByteSize: 0 bytes/workgroup (compile time only)
; SGPRBlocks: 5
; VGPRBlocks: 13
; NumSGPRsForWavesPerEU: 46
; NumVGPRsForWavesPerEU: 111
; Occupancy: 9
; WaveLimiterHint : 1
; COMPUTE_PGM_RSRC2:SCRATCH_EN: 0
; COMPUTE_PGM_RSRC2:USER_SGPR: 6
; COMPUTE_PGM_RSRC2:TRAP_HANDLER: 0
; COMPUTE_PGM_RSRC2:TGID_X_EN: 1
; COMPUTE_PGM_RSRC2:TGID_Y_EN: 0
; COMPUTE_PGM_RSRC2:TGID_Z_EN: 0
; COMPUTE_PGM_RSRC2:TIDIG_COMP_CNT: 0
	.text
	.p2alignl 6, 3214868480
	.fill 48, 4, 3214868480
	.type	__hip_cuid_ce8558b9d37e0384,@object ; @__hip_cuid_ce8558b9d37e0384
	.section	.bss,"aw",@nobits
	.globl	__hip_cuid_ce8558b9d37e0384
__hip_cuid_ce8558b9d37e0384:
	.byte	0                               ; 0x0
	.size	__hip_cuid_ce8558b9d37e0384, 1

	.ident	"AMD clang version 19.0.0git (https://github.com/RadeonOpenCompute/llvm-project roc-6.4.0 25133 c7fe45cf4b819c5991fe208aaa96edf142730f1d)"
	.section	".note.GNU-stack","",@progbits
	.addrsig
	.addrsig_sym __hip_cuid_ce8558b9d37e0384
	.amdgpu_metadata
---
amdhsa.kernels:
  - .args:
      - .actual_access:  read_only
        .address_space:  global
        .offset:         0
        .size:           8
        .value_kind:     global_buffer
      - .address_space:  global
        .offset:         8
        .size:           8
        .value_kind:     global_buffer
      - .offset:         16
        .size:           8
        .value_kind:     by_value
      - .actual_access:  read_only
        .address_space:  global
        .offset:         24
        .size:           8
        .value_kind:     global_buffer
      - .actual_access:  read_only
        .address_space:  global
        .offset:         32
        .size:           8
        .value_kind:     global_buffer
      - .offset:         40
        .size:           8
        .value_kind:     by_value
      - .actual_access:  read_only
        .address_space:  global
        .offset:         48
        .size:           8
        .value_kind:     global_buffer
      - .actual_access:  read_only
        .address_space:  global
        .offset:         56
        .size:           8
        .value_kind:     global_buffer
      - .offset:         64
        .size:           4
        .value_kind:     by_value
      - .actual_access:  read_only
        .address_space:  global
        .offset:         72
        .size:           8
        .value_kind:     global_buffer
      - .actual_access:  read_only
        .address_space:  global
        .offset:         80
        .size:           8
        .value_kind:     global_buffer
      - .address_space:  global
        .offset:         88
        .size:           8
        .value_kind:     global_buffer
    .group_segment_fixed_size: 0
    .kernarg_segment_align: 8
    .kernarg_segment_size: 96
    .language:       OpenCL C
    .language_version:
      - 2
      - 0
    .max_flat_workgroup_size: 336
    .name:           fft_rtc_back_len336_factors_6_7_8_wgs_336_tpt_56_dp_ip_CI_sbcc_twdbase5_3step_dirReg
    .private_segment_fixed_size: 0
    .sgpr_count:     46
    .sgpr_spill_count: 0
    .symbol:         fft_rtc_back_len336_factors_6_7_8_wgs_336_tpt_56_dp_ip_CI_sbcc_twdbase5_3step_dirReg.kd
    .uniform_work_group_size: 1
    .uses_dynamic_stack: false
    .vgpr_count:     111
    .vgpr_spill_count: 0
    .wavefront_size: 32
    .workgroup_processor_mode: 1
amdhsa.target:   amdgcn-amd-amdhsa--gfx1030
amdhsa.version:
  - 1
  - 2
...

	.end_amdgpu_metadata
